;; amdgpu-corpus repo=ROCm/rocFFT kind=compiled arch=gfx1201 opt=O3
	.text
	.amdgcn_target "amdgcn-amd-amdhsa--gfx1201"
	.amdhsa_code_object_version 6
	.protected	fft_rtc_back_len1792_factors_4_4_4_4_7_wgs_224_tpt_224_halfLds_dp_op_CI_CI_sbrr_dirReg ; -- Begin function fft_rtc_back_len1792_factors_4_4_4_4_7_wgs_224_tpt_224_halfLds_dp_op_CI_CI_sbrr_dirReg
	.globl	fft_rtc_back_len1792_factors_4_4_4_4_7_wgs_224_tpt_224_halfLds_dp_op_CI_CI_sbrr_dirReg
	.p2align	8
	.type	fft_rtc_back_len1792_factors_4_4_4_4_7_wgs_224_tpt_224_halfLds_dp_op_CI_CI_sbrr_dirReg,@function
fft_rtc_back_len1792_factors_4_4_4_4_7_wgs_224_tpt_224_halfLds_dp_op_CI_CI_sbrr_dirReg: ; @fft_rtc_back_len1792_factors_4_4_4_4_7_wgs_224_tpt_224_halfLds_dp_op_CI_CI_sbrr_dirReg
; %bb.0:
	s_clause 0x2
	s_load_b128 s[12:15], s[0:1], 0x18
	s_load_b128 s[4:7], s[0:1], 0x0
	;; [unrolled: 1-line block ×3, first 2 shown]
	v_mul_u32_u24_e32 v1, 0x125, v0
	v_mov_b32_e32 v4, 0
	v_mov_b32_e32 v5, 0
	s_wait_kmcnt 0x0
	s_load_b64 s[18:19], s[12:13], 0x0
	s_load_b64 s[16:17], s[14:15], 0x0
	v_lshrrev_b32_e32 v2, 16, v1
	v_mov_b32_e32 v1, 0
	v_cmp_lt_u64_e64 s2, s[6:7], 2
	s_delay_alu instid0(VALU_DEP_2) | instskip(NEXT) | instid1(VALU_DEP_2)
	v_dual_mov_b32 v7, v1 :: v_dual_add_nc_u32 v6, ttmp9, v2
	s_and_b32 vcc_lo, exec_lo, s2
	s_cbranch_vccnz .LBB0_8
; %bb.1:
	s_load_b64 s[2:3], s[0:1], 0x10
	v_mov_b32_e32 v4, 0
	v_mov_b32_e32 v5, 0
	s_add_nc_u64 s[20:21], s[14:15], 8
	s_add_nc_u64 s[22:23], s[12:13], 8
	s_mov_b64 s[24:25], 1
	s_delay_alu instid0(VALU_DEP_1)
	v_dual_mov_b32 v53, v5 :: v_dual_mov_b32 v52, v4
	s_wait_kmcnt 0x0
	s_add_nc_u64 s[26:27], s[2:3], 8
	s_mov_b32 s3, 0
.LBB0_2:                                ; =>This Inner Loop Header: Depth=1
	s_load_b64 s[28:29], s[26:27], 0x0
                                        ; implicit-def: $vgpr54_vgpr55
	s_mov_b32 s2, exec_lo
	s_wait_kmcnt 0x0
	v_or_b32_e32 v2, s29, v7
	s_delay_alu instid0(VALU_DEP_1)
	v_cmpx_ne_u64_e32 0, v[1:2]
	s_wait_alu 0xfffe
	s_xor_b32 s30, exec_lo, s2
	s_cbranch_execz .LBB0_4
; %bb.3:                                ;   in Loop: Header=BB0_2 Depth=1
	s_cvt_f32_u32 s2, s28
	s_cvt_f32_u32 s31, s29
	s_sub_nc_u64 s[36:37], 0, s[28:29]
	s_wait_alu 0xfffe
	s_delay_alu instid0(SALU_CYCLE_1) | instskip(SKIP_1) | instid1(SALU_CYCLE_2)
	s_fmamk_f32 s2, s31, 0x4f800000, s2
	s_wait_alu 0xfffe
	v_s_rcp_f32 s2, s2
	s_delay_alu instid0(TRANS32_DEP_1) | instskip(SKIP_1) | instid1(SALU_CYCLE_2)
	s_mul_f32 s2, s2, 0x5f7ffffc
	s_wait_alu 0xfffe
	s_mul_f32 s31, s2, 0x2f800000
	s_wait_alu 0xfffe
	s_delay_alu instid0(SALU_CYCLE_2) | instskip(SKIP_1) | instid1(SALU_CYCLE_2)
	s_trunc_f32 s31, s31
	s_wait_alu 0xfffe
	s_fmamk_f32 s2, s31, 0xcf800000, s2
	s_cvt_u32_f32 s35, s31
	s_wait_alu 0xfffe
	s_delay_alu instid0(SALU_CYCLE_1) | instskip(SKIP_1) | instid1(SALU_CYCLE_2)
	s_cvt_u32_f32 s34, s2
	s_wait_alu 0xfffe
	s_mul_u64 s[38:39], s[36:37], s[34:35]
	s_wait_alu 0xfffe
	s_mul_hi_u32 s41, s34, s39
	s_mul_i32 s40, s34, s39
	s_mul_hi_u32 s2, s34, s38
	s_mul_i32 s33, s35, s38
	s_wait_alu 0xfffe
	s_add_nc_u64 s[40:41], s[2:3], s[40:41]
	s_mul_hi_u32 s31, s35, s38
	s_mul_hi_u32 s42, s35, s39
	s_add_co_u32 s2, s40, s33
	s_wait_alu 0xfffe
	s_add_co_ci_u32 s2, s41, s31
	s_mul_i32 s38, s35, s39
	s_add_co_ci_u32 s39, s42, 0
	s_wait_alu 0xfffe
	s_add_nc_u64 s[38:39], s[2:3], s[38:39]
	s_wait_alu 0xfffe
	v_add_co_u32 v2, s2, s34, s38
	s_delay_alu instid0(VALU_DEP_1) | instskip(SKIP_1) | instid1(VALU_DEP_1)
	s_cmp_lg_u32 s2, 0
	s_add_co_ci_u32 s35, s35, s39
	v_readfirstlane_b32 s34, v2
	s_wait_alu 0xfffe
	s_delay_alu instid0(VALU_DEP_1)
	s_mul_u64 s[36:37], s[36:37], s[34:35]
	s_wait_alu 0xfffe
	s_mul_hi_u32 s39, s34, s37
	s_mul_i32 s38, s34, s37
	s_mul_hi_u32 s2, s34, s36
	s_mul_i32 s33, s35, s36
	s_wait_alu 0xfffe
	s_add_nc_u64 s[38:39], s[2:3], s[38:39]
	s_mul_hi_u32 s31, s35, s36
	s_mul_hi_u32 s34, s35, s37
	s_wait_alu 0xfffe
	s_add_co_u32 s2, s38, s33
	s_add_co_ci_u32 s2, s39, s31
	s_mul_i32 s36, s35, s37
	s_add_co_ci_u32 s37, s34, 0
	s_wait_alu 0xfffe
	s_add_nc_u64 s[36:37], s[2:3], s[36:37]
	s_wait_alu 0xfffe
	v_add_co_u32 v8, s2, v2, s36
	s_delay_alu instid0(VALU_DEP_1) | instskip(SKIP_1) | instid1(VALU_DEP_1)
	s_cmp_lg_u32 s2, 0
	s_add_co_ci_u32 s2, s35, s37
	v_mul_hi_u32 v12, v6, v8
	s_wait_alu 0xfffe
	v_mad_co_u64_u32 v[2:3], null, v6, s2, 0
	v_mad_co_u64_u32 v[8:9], null, v7, v8, 0
	;; [unrolled: 1-line block ×3, first 2 shown]
	s_delay_alu instid0(VALU_DEP_3) | instskip(SKIP_1) | instid1(VALU_DEP_4)
	v_add_co_u32 v2, vcc_lo, v12, v2
	s_wait_alu 0xfffd
	v_add_co_ci_u32_e32 v3, vcc_lo, 0, v3, vcc_lo
	s_delay_alu instid0(VALU_DEP_2) | instskip(SKIP_1) | instid1(VALU_DEP_2)
	v_add_co_u32 v2, vcc_lo, v2, v8
	s_wait_alu 0xfffd
	v_add_co_ci_u32_e32 v2, vcc_lo, v3, v9, vcc_lo
	s_wait_alu 0xfffd
	v_add_co_ci_u32_e32 v3, vcc_lo, 0, v11, vcc_lo
	s_delay_alu instid0(VALU_DEP_2) | instskip(SKIP_1) | instid1(VALU_DEP_2)
	v_add_co_u32 v8, vcc_lo, v2, v10
	s_wait_alu 0xfffd
	v_add_co_ci_u32_e32 v9, vcc_lo, 0, v3, vcc_lo
	s_delay_alu instid0(VALU_DEP_2) | instskip(SKIP_1) | instid1(VALU_DEP_3)
	v_mul_lo_u32 v10, s29, v8
	v_mad_co_u64_u32 v[2:3], null, s28, v8, 0
	v_mul_lo_u32 v11, s28, v9
	s_delay_alu instid0(VALU_DEP_2) | instskip(NEXT) | instid1(VALU_DEP_2)
	v_sub_co_u32 v2, vcc_lo, v6, v2
	v_add3_u32 v3, v3, v11, v10
	s_delay_alu instid0(VALU_DEP_1) | instskip(SKIP_1) | instid1(VALU_DEP_1)
	v_sub_nc_u32_e32 v10, v7, v3
	s_wait_alu 0xfffd
	v_subrev_co_ci_u32_e64 v10, s2, s29, v10, vcc_lo
	v_add_co_u32 v11, s2, v8, 2
	s_wait_alu 0xf1ff
	v_add_co_ci_u32_e64 v12, s2, 0, v9, s2
	v_sub_co_u32 v13, s2, v2, s28
	v_sub_co_ci_u32_e32 v3, vcc_lo, v7, v3, vcc_lo
	s_wait_alu 0xf1ff
	v_subrev_co_ci_u32_e64 v10, s2, 0, v10, s2
	s_delay_alu instid0(VALU_DEP_3) | instskip(NEXT) | instid1(VALU_DEP_3)
	v_cmp_le_u32_e32 vcc_lo, s28, v13
	v_cmp_eq_u32_e64 s2, s29, v3
	s_wait_alu 0xfffd
	v_cndmask_b32_e64 v13, 0, -1, vcc_lo
	v_cmp_le_u32_e32 vcc_lo, s29, v10
	s_wait_alu 0xfffd
	v_cndmask_b32_e64 v14, 0, -1, vcc_lo
	v_cmp_le_u32_e32 vcc_lo, s28, v2
	;; [unrolled: 3-line block ×3, first 2 shown]
	s_wait_alu 0xfffd
	v_cndmask_b32_e64 v15, 0, -1, vcc_lo
	v_cmp_eq_u32_e32 vcc_lo, s29, v10
	s_wait_alu 0xf1ff
	s_delay_alu instid0(VALU_DEP_2)
	v_cndmask_b32_e64 v2, v15, v2, s2
	s_wait_alu 0xfffd
	v_cndmask_b32_e32 v10, v14, v13, vcc_lo
	v_add_co_u32 v13, vcc_lo, v8, 1
	s_wait_alu 0xfffd
	v_add_co_ci_u32_e32 v14, vcc_lo, 0, v9, vcc_lo
	s_delay_alu instid0(VALU_DEP_3) | instskip(SKIP_1) | instid1(VALU_DEP_2)
	v_cmp_ne_u32_e32 vcc_lo, 0, v10
	s_wait_alu 0xfffd
	v_dual_cndmask_b32 v3, v14, v12 :: v_dual_cndmask_b32 v10, v13, v11
	v_cmp_ne_u32_e32 vcc_lo, 0, v2
	s_wait_alu 0xfffd
	s_delay_alu instid0(VALU_DEP_2)
	v_dual_cndmask_b32 v55, v9, v3 :: v_dual_cndmask_b32 v54, v8, v10
.LBB0_4:                                ;   in Loop: Header=BB0_2 Depth=1
	s_wait_alu 0xfffe
	s_and_not1_saveexec_b32 s2, s30
	s_cbranch_execz .LBB0_6
; %bb.5:                                ;   in Loop: Header=BB0_2 Depth=1
	v_cvt_f32_u32_e32 v2, s28
	s_sub_co_i32 s30, 0, s28
	v_mov_b32_e32 v55, v1
	s_delay_alu instid0(VALU_DEP_2) | instskip(NEXT) | instid1(TRANS32_DEP_1)
	v_rcp_iflag_f32_e32 v2, v2
	v_mul_f32_e32 v2, 0x4f7ffffe, v2
	s_delay_alu instid0(VALU_DEP_1) | instskip(SKIP_1) | instid1(VALU_DEP_1)
	v_cvt_u32_f32_e32 v2, v2
	s_wait_alu 0xfffe
	v_mul_lo_u32 v3, s30, v2
	s_delay_alu instid0(VALU_DEP_1) | instskip(NEXT) | instid1(VALU_DEP_1)
	v_mul_hi_u32 v3, v2, v3
	v_add_nc_u32_e32 v2, v2, v3
	s_delay_alu instid0(VALU_DEP_1) | instskip(NEXT) | instid1(VALU_DEP_1)
	v_mul_hi_u32 v2, v6, v2
	v_mul_lo_u32 v3, v2, s28
	v_add_nc_u32_e32 v8, 1, v2
	s_delay_alu instid0(VALU_DEP_2) | instskip(NEXT) | instid1(VALU_DEP_1)
	v_sub_nc_u32_e32 v3, v6, v3
	v_subrev_nc_u32_e32 v9, s28, v3
	v_cmp_le_u32_e32 vcc_lo, s28, v3
	s_wait_alu 0xfffd
	s_delay_alu instid0(VALU_DEP_2) | instskip(NEXT) | instid1(VALU_DEP_1)
	v_dual_cndmask_b32 v3, v3, v9 :: v_dual_cndmask_b32 v2, v2, v8
	v_cmp_le_u32_e32 vcc_lo, s28, v3
	s_delay_alu instid0(VALU_DEP_2) | instskip(SKIP_1) | instid1(VALU_DEP_1)
	v_add_nc_u32_e32 v8, 1, v2
	s_wait_alu 0xfffd
	v_cndmask_b32_e32 v54, v2, v8, vcc_lo
.LBB0_6:                                ;   in Loop: Header=BB0_2 Depth=1
	s_wait_alu 0xfffe
	s_or_b32 exec_lo, exec_lo, s2
	v_mul_lo_u32 v8, v55, s28
	s_delay_alu instid0(VALU_DEP_2)
	v_mul_lo_u32 v9, v54, s29
	s_load_b64 s[30:31], s[22:23], 0x0
	v_mad_co_u64_u32 v[2:3], null, v54, s28, 0
	s_load_b64 s[28:29], s[20:21], 0x0
	s_add_nc_u64 s[24:25], s[24:25], 1
	s_add_nc_u64 s[20:21], s[20:21], 8
	s_wait_alu 0xfffe
	v_cmp_ge_u64_e64 s2, s[24:25], s[6:7]
	s_add_nc_u64 s[22:23], s[22:23], 8
	s_add_nc_u64 s[26:27], s[26:27], 8
	v_add3_u32 v3, v3, v9, v8
	v_sub_co_u32 v2, vcc_lo, v6, v2
	s_wait_alu 0xfffd
	s_delay_alu instid0(VALU_DEP_2) | instskip(SKIP_2) | instid1(VALU_DEP_1)
	v_sub_co_ci_u32_e32 v3, vcc_lo, v7, v3, vcc_lo
	s_and_b32 vcc_lo, exec_lo, s2
	s_wait_kmcnt 0x0
	v_mul_lo_u32 v6, s30, v3
	v_mul_lo_u32 v7, s31, v2
	v_mad_co_u64_u32 v[4:5], null, s30, v2, v[4:5]
	v_mul_lo_u32 v3, s28, v3
	v_mul_lo_u32 v8, s29, v2
	v_mad_co_u64_u32 v[52:53], null, s28, v2, v[52:53]
	s_delay_alu instid0(VALU_DEP_4) | instskip(NEXT) | instid1(VALU_DEP_2)
	v_add3_u32 v5, v7, v5, v6
	v_add3_u32 v53, v8, v53, v3
	s_wait_alu 0xfffe
	s_cbranch_vccnz .LBB0_9
; %bb.7:                                ;   in Loop: Header=BB0_2 Depth=1
	v_dual_mov_b32 v6, v54 :: v_dual_mov_b32 v7, v55
	s_branch .LBB0_2
.LBB0_8:
	v_dual_mov_b32 v53, v5 :: v_dual_mov_b32 v52, v4
	s_delay_alu instid0(VALU_DEP_2)
	v_dual_mov_b32 v55, v7 :: v_dual_mov_b32 v54, v6
.LBB0_9:
	s_load_b64 s[0:1], s[0:1], 0x28
	v_mul_hi_u32 v1, 0x124924a, v0
	s_lshl_b64 s[6:7], s[6:7], 3
                                        ; implicit-def: $vgpr64
                                        ; implicit-def: $vgpr65
	s_wait_kmcnt 0x0
	v_cmp_gt_u64_e32 vcc_lo, s[0:1], v[54:55]
	v_cmp_le_u64_e64 s0, s[0:1], v[54:55]
	s_delay_alu instid0(VALU_DEP_1)
	s_and_saveexec_b32 s1, s0
	s_wait_alu 0xfffe
	s_xor_b32 s0, exec_lo, s1
; %bb.10:
	v_mul_u32_u24_e32 v1, 0xe0, v1
                                        ; implicit-def: $vgpr4_vgpr5
	s_delay_alu instid0(VALU_DEP_1) | instskip(NEXT) | instid1(VALU_DEP_1)
	v_sub_nc_u32_e32 v64, v0, v1
                                        ; implicit-def: $vgpr1
                                        ; implicit-def: $vgpr0
	v_add_nc_u32_e32 v65, 0xe0, v64
; %bb.11:
	s_wait_alu 0xfffe
	s_or_saveexec_b32 s1, s0
	s_add_nc_u64 s[2:3], s[14:15], s[6:7]
                                        ; implicit-def: $vgpr2_vgpr3
                                        ; implicit-def: $vgpr18_vgpr19
                                        ; implicit-def: $vgpr10_vgpr11
                                        ; implicit-def: $vgpr22_vgpr23
                                        ; implicit-def: $vgpr30_vgpr31
                                        ; implicit-def: $vgpr14_vgpr15
                                        ; implicit-def: $vgpr26_vgpr27
                                        ; implicit-def: $vgpr6_vgpr7
	s_wait_alu 0xfffe
	s_xor_b32 exec_lo, exec_lo, s1
	s_cbranch_execz .LBB0_13
; %bb.12:
	s_add_nc_u64 s[6:7], s[12:13], s[6:7]
	v_mul_u32_u24_e32 v1, 0xe0, v1
	s_load_b64 s[6:7], s[6:7], 0x0
	v_lshlrev_b64_e32 v[4:5], 4, v[4:5]
	s_delay_alu instid0(VALU_DEP_2) | instskip(NEXT) | instid1(VALU_DEP_1)
	v_sub_nc_u32_e32 v64, v0, v1
	v_mad_co_u64_u32 v[0:1], null, s18, v64, 0
	v_add_nc_u32_e32 v15, 0x380, v64
	v_add_nc_u32_e32 v20, 0x2a0, v64
	s_delay_alu instid0(VALU_DEP_2) | instskip(SKIP_4) | instid1(VALU_DEP_1)
	v_mad_co_u64_u32 v[8:9], null, s18, v15, 0
	s_wait_kmcnt 0x0
	v_mul_lo_u32 v12, s7, v54
	v_mul_lo_u32 v14, s6, v55
	v_mad_co_u64_u32 v[2:3], null, s6, v54, 0
	v_mad_co_u64_u32 v[10:11], null, s19, v64, v[1:2]
	s_delay_alu instid0(VALU_DEP_2) | instskip(SKIP_1) | instid1(VALU_DEP_2)
	v_add3_u32 v3, v3, v14, v12
	v_add_nc_u32_e32 v16, 0x540, v64
	v_lshlrev_b64_e32 v[2:3], 4, v[2:3]
	s_delay_alu instid0(VALU_DEP_4) | instskip(NEXT) | instid1(VALU_DEP_3)
	v_mov_b32_e32 v1, v10
	v_mad_co_u64_u32 v[11:12], null, s18, v16, 0
	v_add_nc_u32_e32 v13, 0x1c0, v64
	v_mad_co_u64_u32 v[9:10], null, s19, v15, v[9:10]
	v_add_co_u32 v2, s0, s8, v2
	s_wait_alu 0xf1ff
	v_add_co_ci_u32_e64 v3, s0, s9, v3, s0
	v_lshlrev_b64_e32 v[0:1], 4, v[0:1]
	s_delay_alu instid0(VALU_DEP_3) | instskip(SKIP_4) | instid1(VALU_DEP_3)
	v_add_co_u32 v24, s0, v2, v4
	v_mov_b32_e32 v4, v12
	v_mad_co_u64_u32 v[6:7], null, s18, v13, 0
	s_wait_alu 0xf1ff
	v_add_co_ci_u32_e64 v25, s0, v3, v5, s0
	v_mad_co_u64_u32 v[15:16], null, s19, v16, v[4:5]
	v_add_nc_u32_e32 v65, 0xe0, v64
	v_add_co_u32 v0, s0, v24, v0
	v_mad_co_u64_u32 v[13:14], null, s19, v13, v[7:8]
	v_lshlrev_b64_e32 v[8:9], 4, v[8:9]
	v_mov_b32_e32 v12, v15
	v_mad_co_u64_u32 v[16:17], null, s18, v20, 0
	v_add_nc_u32_e32 v23, 0x460, v64
	s_wait_alu 0xf1ff
	v_add_co_ci_u32_e64 v1, s0, v25, v1, s0
	v_mov_b32_e32 v7, v13
	v_mad_co_u64_u32 v[13:14], null, s18, v65, 0
	s_delay_alu instid0(VALU_DEP_2) | instskip(NEXT) | instid1(VALU_DEP_2)
	v_lshlrev_b64_e32 v[2:3], 4, v[6:7]
	v_mov_b32_e32 v10, v14
	s_delay_alu instid0(VALU_DEP_2) | instskip(SKIP_1) | instid1(VALU_DEP_3)
	v_add_co_u32 v2, s0, v24, v2
	s_wait_alu 0xf1ff
	v_add_co_ci_u32_e64 v3, s0, v25, v3, s0
	s_delay_alu instid0(VALU_DEP_3) | instskip(SKIP_4) | instid1(VALU_DEP_4)
	v_mad_co_u64_u32 v[14:15], null, s19, v65, v[10:11]
	v_mov_b32_e32 v10, v17
	v_mad_co_u64_u32 v[18:19], null, s18, v23, 0
	v_add_nc_u32_e32 v15, 0x620, v64
	v_add_co_u32 v8, s0, v24, v8
	v_mad_co_u64_u32 v[20:21], null, s19, v20, v[10:11]
	v_lshlrev_b64_e32 v[11:12], 4, v[11:12]
	v_mov_b32_e32 v10, v19
	v_mad_co_u64_u32 v[21:22], null, s18, v15, 0
	s_wait_alu 0xf1ff
	v_add_co_ci_u32_e64 v9, s0, v25, v9, s0
	v_mov_b32_e32 v17, v20
	v_mad_co_u64_u32 v[19:20], null, s19, v23, v[10:11]
	v_add_co_u32 v11, s0, v24, v11
	v_mov_b32_e32 v10, v22
	v_lshlrev_b64_e32 v[13:14], 4, v[13:14]
	s_wait_alu 0xf1ff
	v_add_co_ci_u32_e64 v12, s0, v25, v12, s0
	s_clause 0x1
	global_load_b128 v[4:7], v[0:1], off
	global_load_b128 v[0:3], v[2:3], off
	v_mad_co_u64_u32 v[22:23], null, s19, v15, v[10:11]
	v_lshlrev_b64_e32 v[15:16], 4, v[16:17]
	v_add_co_u32 v13, s0, v24, v13
	s_wait_alu 0xf1ff
	v_add_co_ci_u32_e64 v14, s0, v25, v14, s0
	v_lshlrev_b64_e32 v[17:18], 4, v[18:19]
	s_delay_alu instid0(VALU_DEP_4) | instskip(SKIP_3) | instid1(VALU_DEP_4)
	v_add_co_u32 v28, s0, v24, v15
	s_wait_alu 0xf1ff
	v_add_co_ci_u32_e64 v29, s0, v25, v16, s0
	v_lshlrev_b64_e32 v[15:16], 4, v[21:22]
	v_add_co_u32 v20, s0, v24, v17
	s_wait_alu 0xf1ff
	v_add_co_ci_u32_e64 v21, s0, v25, v18, s0
	s_delay_alu instid0(VALU_DEP_3)
	v_add_co_u32 v30, s0, v24, v15
	s_wait_alu 0xf1ff
	v_add_co_ci_u32_e64 v31, s0, v25, v16, s0
	s_clause 0x5
	global_load_b128 v[16:19], v[8:9], off
	global_load_b128 v[24:27], v[11:12], off
	global_load_b128 v[12:15], v[13:14], off
	global_load_b128 v[8:11], v[28:29], off
	global_load_b128 v[20:23], v[20:21], off
	global_load_b128 v[28:31], v[30:31], off
.LBB0_13:
	s_or_b32 exec_lo, exec_lo, s1
	s_wait_loadcnt 0x5
	v_add_f64_e64 v[32:33], v[4:5], -v[16:17]
	s_wait_loadcnt 0x4
	v_add_f64_e64 v[16:17], v[0:1], -v[24:25]
	;; [unrolled: 2-line block ×4, first 2 shown]
	v_add_f64_e64 v[28:29], v[6:7], -v[18:19]
	v_add_f64_e64 v[18:19], v[2:3], -v[26:27]
	;; [unrolled: 1-line block ×4, first 2 shown]
	v_and_b32_e32 v51, 3, v64
	v_lshl_add_u32 v66, v64, 5, 0
	s_load_b64 s[2:3], s[2:3], 0x0
	v_lshlrev_b32_e32 v77, 2, v64
	v_and_b32_e32 v73, 15, v64
	v_lshlrev_b32_e32 v78, 2, v65
	v_and_b32_e32 v79, 63, v64
	v_and_b32_e32 v80, 63, v65
	v_cmp_gt_u32_e64 s0, 32, v64
	v_fma_f64 v[26:27], v[4:5], 2.0, -v[32:33]
	v_fma_f64 v[0:1], v[0:1], 2.0, -v[16:17]
	;; [unrolled: 1-line block ×8, first 2 shown]
	v_add_f64_e32 v[5:6], v[18:19], v[32:33]
	v_add_f64_e32 v[9:10], v[22:23], v[24:25]
	v_add_f64_e64 v[3:4], v[26:27], -v[0:1]
	v_mad_i32_i24 v1, 0xffffffe8, v64, v66
	v_add_f64_e64 v[7:8], v[30:31], -v[12:13]
	v_add_f64_e64 v[13:14], v[28:29], -v[16:17]
	;; [unrolled: 1-line block ×5, first 2 shown]
	v_fma_f64 v[21:22], v[32:33], 2.0, -v[5:6]
	v_lshl_add_u32 v0, v65, 5, 0
	v_add_nc_u32_e32 v71, 0x1500, v1
	v_add_nc_u32_e32 v72, 0x2300, v1
	s_delay_alu instid0(VALU_DEP_3)
	v_mad_i32_i24 v2, 0xffffffe8, v65, v0
	v_fma_f64 v[19:20], v[26:27], 2.0, -v[3:4]
	v_fma_f64 v[25:26], v[24:25], 2.0, -v[9:10]
	;; [unrolled: 1-line block ×7, first 2 shown]
	v_mul_u32_u24_e32 v35, 3, v51
	ds_store_b128 v66, v[19:22]
	ds_store_b128 v66, v[3:6] offset:16
	ds_store_b128 v0, v[23:26]
	ds_store_b128 v0, v[7:10] offset:16
	v_lshlrev_b32_e32 v35, 4, v35
	global_wb scope:SCOPE_SE
	s_wait_dscnt 0x0
	s_wait_kmcnt 0x0
	s_barrier_signal -1
	s_barrier_wait -1
	global_inv scope:SCOPE_SE
	ds_load_2addr_stride64_b64 v[3:6], v1 offset1:7
	ds_load_2addr_b64 v[7:10], v71 offset1:224
	ds_load_2addr_b64 v[19:22], v72 offset1:224
	ds_load_b64 v[39:40], v2
	ds_load_b64 v[41:42], v1 offset:12544
	global_wb scope:SCOPE_SE
	s_wait_dscnt 0x0
	s_barrier_signal -1
	s_barrier_wait -1
	global_inv scope:SCOPE_SE
	ds_store_b128 v66, v[27:30]
	ds_store_b128 v66, v[11:14] offset:16
	ds_store_b128 v0, v[31:34]
	ds_store_b128 v0, v[15:18] offset:16
	global_wb scope:SCOPE_SE
	s_wait_dscnt 0x0
	s_barrier_signal -1
	s_barrier_wait -1
	global_inv scope:SCOPE_SE
	s_clause 0x2
	global_load_b128 v[11:14], v35, s[4:5]
	global_load_b128 v[15:18], v35, s[4:5] offset:16
	global_load_b128 v[23:26], v35, s[4:5] offset:32
	ds_load_2addr_stride64_b64 v[27:30], v1 offset1:7
	ds_load_2addr_b64 v[31:34], v71 offset1:224
	ds_load_2addr_b64 v[35:38], v72 offset1:224
	ds_load_b64 v[43:44], v1 offset:12544
	s_wait_loadcnt 0x2
	v_mul_f64_e32 v[62:63], v[5:6], v[13:14]
	s_wait_loadcnt 0x1
	v_mul_f64_e32 v[67:68], v[9:10], v[17:18]
	;; [unrolled: 2-line block ×3, first 2 shown]
	s_wait_dscnt 0x3
	v_mul_f64_e32 v[45:46], v[29:30], v[13:14]
	s_wait_dscnt 0x2
	v_mul_f64_e32 v[47:48], v[33:34], v[17:18]
	;; [unrolled: 2-line block ×3, first 2 shown]
	v_mul_f64_e32 v[56:57], v[31:32], v[13:14]
	v_mul_f64_e32 v[58:59], v[35:36], v[17:18]
	s_wait_dscnt 0x0
	v_mul_f64_e32 v[60:61], v[43:44], v[25:26]
	v_mul_f64_e32 v[13:14], v[7:8], v[13:14]
	;; [unrolled: 1-line block ×4, first 2 shown]
	v_fma_f64 v[29:30], v[29:30], v[11:12], -v[62:63]
	v_fma_f64 v[33:34], v[33:34], v[15:16], -v[67:68]
	;; [unrolled: 1-line block ×3, first 2 shown]
	v_fma_f64 v[5:6], v[5:6], v[11:12], v[45:46]
	v_fma_f64 v[9:10], v[9:10], v[15:16], v[47:48]
	v_fma_f64 v[21:22], v[21:22], v[23:24], v[49:50]
	v_fma_f64 v[7:8], v[7:8], v[11:12], v[56:57]
	v_fma_f64 v[19:20], v[19:20], v[15:16], v[58:59]
	v_fma_f64 v[41:42], v[41:42], v[23:24], v[60:61]
	v_fma_f64 v[11:12], v[31:32], v[11:12], -v[13:14]
	v_fma_f64 v[13:14], v[35:36], v[15:16], -v[17:18]
	;; [unrolled: 1-line block ×3, first 2 shown]
	ds_load_b64 v[17:18], v2
	global_wb scope:SCOPE_SE
	s_wait_dscnt 0x0
	s_barrier_signal -1
	s_barrier_wait -1
	global_inv scope:SCOPE_SE
	v_add_f64_e64 v[25:26], v[27:28], -v[33:34]
	v_add_f64_e64 v[31:32], v[29:30], -v[37:38]
	v_mul_u32_u24_e32 v37, 3, v73
	v_add_f64_e64 v[9:10], v[3:4], -v[9:10]
	v_add_f64_e64 v[21:22], v[5:6], -v[21:22]
	;; [unrolled: 1-line block ×4, first 2 shown]
	v_lshlrev_b32_e32 v37, 4, v37
	v_add_f64_e64 v[13:14], v[17:18], -v[13:14]
	v_add_f64_e64 v[15:16], v[11:12], -v[15:16]
	v_fma_f64 v[27:28], v[27:28], 2.0, -v[25:26]
	v_fma_f64 v[29:30], v[29:30], 2.0, -v[31:32]
	;; [unrolled: 1-line block ×4, first 2 shown]
	v_add_f64_e64 v[21:22], v[25:26], -v[21:22]
	v_fma_f64 v[33:34], v[39:40], 2.0, -v[19:20]
	v_fma_f64 v[7:8], v[7:8], 2.0, -v[23:24]
	v_add_f64_e32 v[31:32], v[9:10], v[31:32]
	v_fma_f64 v[17:18], v[17:18], 2.0, -v[13:14]
	v_fma_f64 v[11:12], v[11:12], 2.0, -v[15:16]
	v_add_f64_e32 v[15:16], v[19:20], v[15:16]
	v_add_f64_e64 v[23:24], v[13:14], -v[23:24]
	v_add_f64_e64 v[29:30], v[27:28], -v[29:30]
	;; [unrolled: 1-line block ×3, first 2 shown]
	v_fma_f64 v[25:26], v[25:26], 2.0, -v[21:22]
	v_add_f64_e64 v[7:8], v[33:34], -v[7:8]
	v_fma_f64 v[9:10], v[9:10], 2.0, -v[31:32]
	v_add_f64_e64 v[35:36], v[17:18], -v[11:12]
	v_fma_f64 v[11:12], v[19:20], 2.0, -v[15:16]
	v_fma_f64 v[27:28], v[27:28], 2.0, -v[29:30]
	;; [unrolled: 1-line block ×5, first 2 shown]
	v_and_or_b32 v13, 0x3f0, v77, v51
	v_fma_f64 v[17:18], v[17:18], 2.0, -v[35:36]
	v_and_or_b32 v14, 0x7f0, v78, v51
	s_delay_alu instid0(VALU_DEP_3) | instskip(NEXT) | instid1(VALU_DEP_2)
	v_lshl_add_u32 v38, v13, 3, 0
	v_lshl_add_u32 v43, v14, 3, 0
	ds_store_2addr_b64 v38, v[5:6], v[31:32] offset0:8 offset1:12
	ds_store_2addr_b64 v38, v[3:4], v[9:10] offset1:4
	ds_store_2addr_b64 v43, v[19:20], v[11:12] offset1:4
	ds_store_2addr_b64 v43, v[7:8], v[15:16] offset0:8 offset1:12
	global_wb scope:SCOPE_SE
	s_wait_dscnt 0x0
	s_barrier_signal -1
	s_barrier_wait -1
	global_inv scope:SCOPE_SE
	ds_load_2addr_stride64_b64 v[3:6], v1 offset1:7
	ds_load_2addr_b64 v[7:10], v71 offset1:224
	ds_load_2addr_b64 v[11:14], v72 offset1:224
	ds_load_b64 v[39:40], v2
	ds_load_b64 v[41:42], v1 offset:12544
	global_wb scope:SCOPE_SE
	s_wait_dscnt 0x0
	s_barrier_signal -1
	s_barrier_wait -1
	global_inv scope:SCOPE_SE
	ds_store_2addr_b64 v38, v[27:28], v[25:26] offset1:4
	ds_store_2addr_b64 v38, v[29:30], v[21:22] offset0:8 offset1:12
	ds_store_2addr_b64 v43, v[17:18], v[33:34] offset1:4
	ds_store_2addr_b64 v43, v[35:36], v[23:24] offset0:8 offset1:12
	global_wb scope:SCOPE_SE
	s_wait_dscnt 0x0
	s_barrier_signal -1
	s_barrier_wait -1
	global_inv scope:SCOPE_SE
	s_clause 0x2
	global_load_b128 v[15:18], v37, s[4:5] offset:192
	global_load_b128 v[19:22], v37, s[4:5] offset:208
	global_load_b128 v[23:26], v37, s[4:5] offset:224
	ds_load_2addr_stride64_b64 v[27:30], v1 offset1:7
	ds_load_2addr_b64 v[31:34], v71 offset1:224
	ds_load_2addr_b64 v[35:38], v72 offset1:224
	ds_load_b64 v[43:44], v1 offset:12544
	s_wait_loadcnt 0x2
	v_mul_f64_e32 v[62:63], v[5:6], v[17:18]
	s_wait_loadcnt 0x1
	v_mul_f64_e32 v[67:68], v[9:10], v[21:22]
	;; [unrolled: 2-line block ×3, first 2 shown]
	s_wait_dscnt 0x3
	v_mul_f64_e32 v[45:46], v[29:30], v[17:18]
	s_wait_dscnt 0x2
	v_mul_f64_e32 v[47:48], v[33:34], v[21:22]
	;; [unrolled: 2-line block ×3, first 2 shown]
	v_mul_f64_e32 v[56:57], v[31:32], v[17:18]
	v_mul_f64_e32 v[58:59], v[35:36], v[21:22]
	s_wait_dscnt 0x0
	v_mul_f64_e32 v[60:61], v[43:44], v[25:26]
	v_mul_f64_e32 v[17:18], v[7:8], v[17:18]
	;; [unrolled: 1-line block ×4, first 2 shown]
	v_fma_f64 v[29:30], v[29:30], v[15:16], -v[62:63]
	v_fma_f64 v[33:34], v[33:34], v[19:20], -v[67:68]
	;; [unrolled: 1-line block ×3, first 2 shown]
	v_fma_f64 v[5:6], v[5:6], v[15:16], v[45:46]
	v_fma_f64 v[9:10], v[9:10], v[19:20], v[47:48]
	;; [unrolled: 1-line block ×6, first 2 shown]
	v_fma_f64 v[15:16], v[31:32], v[15:16], -v[17:18]
	v_fma_f64 v[17:18], v[35:36], v[19:20], -v[21:22]
	;; [unrolled: 1-line block ×3, first 2 shown]
	ds_load_b64 v[21:22], v2
	global_wb scope:SCOPE_SE
	s_wait_dscnt 0x0
	s_barrier_signal -1
	s_barrier_wait -1
	global_inv scope:SCOPE_SE
	v_add_f64_e64 v[25:26], v[27:28], -v[33:34]
	v_add_f64_e64 v[31:32], v[29:30], -v[37:38]
	;; [unrolled: 1-line block ×8, first 2 shown]
	v_fma_f64 v[27:28], v[27:28], 2.0, -v[25:26]
	v_fma_f64 v[29:30], v[29:30], 2.0, -v[31:32]
	;; [unrolled: 1-line block ×4, first 2 shown]
	v_add_f64_e64 v[35:36], v[25:26], -v[13:14]
	v_fma_f64 v[33:34], v[39:40], 2.0, -v[11:12]
	v_fma_f64 v[7:8], v[7:8], 2.0, -v[23:24]
	v_add_f64_e32 v[31:32], v[9:10], v[31:32]
	v_fma_f64 v[21:22], v[21:22], 2.0, -v[17:18]
	v_fma_f64 v[15:16], v[15:16], 2.0, -v[19:20]
	v_add_f64_e32 v[19:20], v[11:12], v[19:20]
	v_add_f64_e64 v[23:24], v[17:18], -v[23:24]
	v_add_f64_e64 v[29:30], v[27:28], -v[29:30]
	;; [unrolled: 1-line block ×3, first 2 shown]
	v_fma_f64 v[25:26], v[25:26], 2.0, -v[35:36]
	v_add_f64_e64 v[7:8], v[33:34], -v[7:8]
	v_fma_f64 v[9:10], v[9:10], 2.0, -v[31:32]
	v_add_f64_e64 v[37:38], v[21:22], -v[15:16]
	v_fma_f64 v[11:12], v[11:12], 2.0, -v[19:20]
	v_and_or_b32 v15, 0x3c0, v77, v73
	v_and_or_b32 v16, 0x7c0, v78, v73
	s_delay_alu instid0(VALU_DEP_2) | instskip(NEXT) | instid1(VALU_DEP_2)
	v_lshl_add_u32 v39, v15, 3, 0
	v_lshl_add_u32 v40, v16, 3, 0
	v_fma_f64 v[27:28], v[27:28], 2.0, -v[29:30]
	v_fma_f64 v[3:4], v[3:4], 2.0, -v[5:6]
	;; [unrolled: 1-line block ×4, first 2 shown]
	v_mul_u32_u24_e32 v17, 3, v79
	v_fma_f64 v[21:22], v[21:22], 2.0, -v[37:38]
	v_mul_u32_u24_e32 v18, 3, v80
	ds_store_2addr_b64 v39, v[5:6], v[31:32] offset0:32 offset1:48
	ds_store_2addr_b64 v39, v[3:4], v[9:10] offset1:16
	ds_store_2addr_b64 v40, v[13:14], v[11:12] offset1:16
	ds_store_2addr_b64 v40, v[7:8], v[19:20] offset0:32 offset1:48
	v_lshlrev_b32_e32 v41, 4, v17
	v_lshlrev_b32_e32 v44, 4, v18
	global_wb scope:SCOPE_SE
	s_wait_dscnt 0x0
	s_barrier_signal -1
	s_barrier_wait -1
	global_inv scope:SCOPE_SE
	ds_load_2addr_stride64_b64 v[3:6], v1 offset1:7
	ds_load_2addr_b64 v[16:19], v71 offset1:224
	ds_load_2addr_b64 v[12:15], v72 offset1:224
	ds_load_b64 v[56:57], v2
	ds_load_b64 v[58:59], v1 offset:12544
	global_wb scope:SCOPE_SE
	s_wait_dscnt 0x0
	s_barrier_signal -1
	s_barrier_wait -1
	global_inv scope:SCOPE_SE
	ds_store_2addr_b64 v39, v[27:28], v[25:26] offset1:16
	ds_store_2addr_b64 v39, v[29:30], v[35:36] offset0:32 offset1:48
	ds_store_2addr_b64 v40, v[21:22], v[33:34] offset1:16
	ds_store_2addr_b64 v40, v[37:38], v[23:24] offset0:32 offset1:48
	global_wb scope:SCOPE_SE
	s_wait_dscnt 0x0
	s_barrier_signal -1
	s_barrier_wait -1
	global_inv scope:SCOPE_SE
	s_clause 0x5
	global_load_b128 v[7:10], v41, s[4:5] offset:960
	global_load_b128 v[20:23], v41, s[4:5] offset:976
	;; [unrolled: 1-line block ×6, first 2 shown]
	ds_load_2addr_stride64_b64 v[28:31], v1 offset1:7
	ds_load_2addr_b64 v[44:47], v71 offset1:224
	ds_load_2addr_b64 v[48:51], v72 offset1:224
	ds_load_b64 v[60:61], v1 offset:12544
	v_and_or_b32 v11, 0x300, v77, v79
	s_wait_loadcnt_dscnt 0x503
	v_mul_f64_e32 v[62:63], v[30:31], v[9:10]
	s_wait_loadcnt_dscnt 0x402
	v_mul_f64_e32 v[67:68], v[46:47], v[22:23]
	;; [unrolled: 2-line block ×3, first 2 shown]
	s_wait_loadcnt 0x2
	v_mul_f64_e32 v[71:72], v[44:45], v[34:35]
	s_wait_loadcnt 0x1
	v_mul_f64_e32 v[73:74], v[48:49], v[42:43]
	s_wait_loadcnt_dscnt 0x0
	v_mul_f64_e32 v[75:76], v[60:61], v[38:39]
	v_mul_f64_e32 v[9:10], v[5:6], v[9:10]
	;; [unrolled: 1-line block ×5, first 2 shown]
	v_fma_f64 v[5:6], v[5:6], v[7:8], v[62:63]
	v_fma_f64 v[62:63], v[18:19], v[20:21], v[67:68]
	v_fma_f64 v[67:68], v[14:15], v[24:25], v[69:70]
	v_fma_f64 v[69:70], v[16:17], v[32:33], v[71:72]
	v_fma_f64 v[71:72], v[12:13], v[40:41], v[73:74]
	v_fma_f64 v[58:59], v[58:59], v[36:37], v[75:76]
	v_fma_f64 v[16:17], v[30:31], v[7:8], -v[9:10]
	v_fma_f64 v[7:8], v[50:51], v[24:25], -v[26:27]
	v_fma_f64 v[14:15], v[44:45], v[32:33], -v[34:35]
	v_fma_f64 v[9:10], v[60:61], v[36:37], -v[38:39]
	v_and_or_b32 v34, 0x700, v78, v80
	v_add_f64_e64 v[24:25], v[3:4], -v[62:63]
	v_add_f64_e64 v[30:31], v[5:6], -v[67:68]
	ds_load_b64 v[62:63], v2
	v_add_f64_e64 v[26:27], v[56:57], -v[71:72]
	v_add_f64_e64 v[44:45], v[69:70], -v[58:59]
	global_wb scope:SCOPE_SE
	s_wait_dscnt 0x0
	v_add_f64_e64 v[60:61], v[16:17], -v[7:8]
	s_barrier_signal -1
	v_add_f64_e64 v[58:59], v[14:15], -v[9:10]
	s_barrier_wait -1
	global_inv scope:SCOPE_SE
	v_mul_i32_i24_e32 v71, 0xffffffe8, v64
	v_lshl_add_u32 v68, v64, 3, 0
	v_fma_f64 v[3:4], v[3:4], 2.0, -v[24:25]
	v_fma_f64 v[5:6], v[5:6], 2.0, -v[30:31]
	;; [unrolled: 1-line block ×4, first 2 shown]
	v_lshl_add_u32 v70, v11, 3, 0
	v_add_f64_e32 v[32:33], v[24:25], v[60:61]
	v_lshl_add_u32 v69, v34, 3, 0
	v_add_f64_e32 v[50:51], v[26:27], v[58:59]
	v_add_f64_e64 v[5:6], v[3:4], -v[5:6]
	v_add_f64_e64 v[9:10], v[7:8], -v[9:10]
	v_fma_f64 v[24:25], v[24:25], 2.0, -v[32:33]
	s_delay_alu instid0(VALU_DEP_4) | instskip(NEXT) | instid1(VALU_DEP_4)
	v_fma_f64 v[26:27], v[26:27], 2.0, -v[50:51]
	v_fma_f64 v[3:4], v[3:4], 2.0, -v[5:6]
	s_delay_alu instid0(VALU_DEP_4)
	v_fma_f64 v[7:8], v[7:8], 2.0, -v[9:10]
	ds_store_2addr_stride64_b64 v70, v[3:4], v[24:25] offset1:1
	ds_store_2addr_stride64_b64 v70, v[5:6], v[32:33] offset0:2 offset1:3
	ds_store_2addr_stride64_b64 v69, v[7:8], v[26:27] offset1:1
	ds_store_2addr_stride64_b64 v69, v[9:10], v[50:51] offset0:2 offset1:3
	global_wb scope:SCOPE_SE
	s_wait_dscnt 0x0
	s_barrier_signal -1
	s_barrier_wait -1
	global_inv scope:SCOPE_SE
	ds_load_2addr_stride64_b64 v[24:27], v1 offset1:4
	ds_load_2addr_stride64_b64 v[32:35], v1 offset0:8 offset1:12
	ds_load_2addr_stride64_b64 v[36:39], v1 offset0:16 offset1:20
	ds_load_b64 v[56:57], v1 offset:12288
	v_mul_i32_i24_e32 v1, 0xffffffe8, v65
                                        ; implicit-def: $vgpr6_vgpr7
                                        ; implicit-def: $vgpr2_vgpr3
                                        ; implicit-def: $vgpr10_vgpr11
	s_delay_alu instid0(VALU_DEP_1)
	v_add_nc_u32_e32 v67, v0, v1
	s_and_saveexec_b32 s1, s0
	s_cbranch_execz .LBB0_15
; %bb.14:
	v_add_nc_u32_e32 v4, 0x100, v68
	ds_load_b64 v[50:51], v67
	ds_load_2addr_stride64_b64 v[8:11], v4 offset0:7 offset1:11
	ds_load_2addr_stride64_b64 v[0:3], v4 offset0:15 offset1:19
	;; [unrolled: 1-line block ×3, first 2 shown]
.LBB0_15:
	s_wait_alu 0xfffe
	s_or_b32 exec_lo, exec_lo, s1
	v_mul_f64_e32 v[18:19], v[18:19], v[22:23]
	v_mul_f64_e32 v[12:13], v[12:13], v[42:43]
	v_fma_f64 v[16:17], v[16:17], 2.0, -v[60:61]
	v_fma_f64 v[14:15], v[14:15], 2.0, -v[58:59]
	v_add_nc_u32_e32 v58, v66, v71
	global_wb scope:SCOPE_SE
	s_wait_dscnt 0x0
	s_barrier_signal -1
	s_barrier_wait -1
	global_inv scope:SCOPE_SE
	v_fma_f64 v[18:19], v[46:47], v[20:21], -v[18:19]
	v_fma_f64 v[12:13], v[48:49], v[40:41], -v[12:13]
	s_delay_alu instid0(VALU_DEP_2) | instskip(NEXT) | instid1(VALU_DEP_2)
	v_add_f64_e64 v[18:19], v[28:29], -v[18:19]
	v_add_f64_e64 v[12:13], v[62:63], -v[12:13]
	s_delay_alu instid0(VALU_DEP_2) | instskip(NEXT) | instid1(VALU_DEP_2)
	v_fma_f64 v[20:21], v[28:29], 2.0, -v[18:19]
	v_fma_f64 v[22:23], v[62:63], 2.0, -v[12:13]
	v_add_f64_e64 v[28:29], v[18:19], -v[30:31]
	v_add_f64_e64 v[48:49], v[12:13], -v[44:45]
	s_delay_alu instid0(VALU_DEP_4) | instskip(NEXT) | instid1(VALU_DEP_4)
	v_add_f64_e64 v[16:17], v[20:21], -v[16:17]
	v_add_f64_e64 v[14:15], v[22:23], -v[14:15]
	s_delay_alu instid0(VALU_DEP_4) | instskip(NEXT) | instid1(VALU_DEP_4)
	v_fma_f64 v[18:19], v[18:19], 2.0, -v[28:29]
	v_fma_f64 v[12:13], v[12:13], 2.0, -v[48:49]
	s_delay_alu instid0(VALU_DEP_4) | instskip(NEXT) | instid1(VALU_DEP_4)
	v_fma_f64 v[20:21], v[20:21], 2.0, -v[16:17]
	v_fma_f64 v[22:23], v[22:23], 2.0, -v[14:15]
	ds_store_2addr_stride64_b64 v70, v[20:21], v[18:19] offset1:1
	ds_store_2addr_stride64_b64 v70, v[16:17], v[28:29] offset0:2 offset1:3
	ds_store_2addr_stride64_b64 v69, v[22:23], v[12:13] offset1:1
	ds_store_2addr_stride64_b64 v69, v[14:15], v[48:49] offset0:2 offset1:3
	global_wb scope:SCOPE_SE
	s_wait_dscnt 0x0
	s_barrier_signal -1
	s_barrier_wait -1
	global_inv scope:SCOPE_SE
	ds_load_2addr_stride64_b64 v[28:31], v58 offset1:4
	ds_load_2addr_stride64_b64 v[40:43], v58 offset0:8 offset1:12
	ds_load_2addr_stride64_b64 v[44:47], v58 offset0:16 offset1:20
	ds_load_b64 v[58:59], v58 offset:12288
                                        ; implicit-def: $vgpr18_vgpr19
                                        ; implicit-def: $vgpr14_vgpr15
                                        ; implicit-def: $vgpr22_vgpr23
	s_and_saveexec_b32 s1, s0
	s_cbranch_execz .LBB0_17
; %bb.16:
	v_add_nc_u32_e32 v16, 0x100, v68
	ds_load_b64 v[48:49], v67
	ds_load_2addr_stride64_b64 v[20:23], v16 offset0:7 offset1:11
	ds_load_2addr_stride64_b64 v[12:15], v16 offset0:15 offset1:19
	;; [unrolled: 1-line block ×3, first 2 shown]
.LBB0_17:
	s_wait_alu 0xfffe
	s_or_b32 exec_lo, exec_lo, s1
	s_and_saveexec_b32 s0, vcc_lo
	s_cbranch_execz .LBB0_20
; %bb.18:
	v_mul_u32_u24_e32 v60, 6, v64
	s_mov_b32 s18, 0xe976ee23
	s_mov_b32 s19, 0x3fe11646
	;; [unrolled: 1-line block ×4, first 2 shown]
	v_lshlrev_b32_e32 v82, 4, v60
	s_mov_b32 s27, 0x3fe948f6
	s_mov_b32 s15, 0x3fac98ee
	;; [unrolled: 1-line block ×4, first 2 shown]
	s_clause 0x5
	global_load_b128 v[60:63], v82, s[4:5] offset:4048
	global_load_b128 v[66:69], v82, s[4:5] offset:4096
	;; [unrolled: 1-line block ×6, first 2 shown]
	s_mov_b32 s22, 0xb247c609
	s_mov_b32 s23, 0xbfd5d0dc
	;; [unrolled: 1-line block ×10, first 2 shown]
	v_lshlrev_b64_e32 v[52:53], 4, v[52:53]
	s_wait_loadcnt 0x5
	v_mul_f64_e32 v[86:87], v[32:33], v[62:63]
	s_wait_loadcnt 0x4
	v_mul_f64_e32 v[88:89], v[38:39], v[68:69]
	;; [unrolled: 2-line block ×4, first 2 shown]
	v_mul_f64_e32 v[32:33], v[32:33], v[60:61]
	v_mul_f64_e32 v[38:39], v[38:39], v[66:67]
	;; [unrolled: 1-line block ×4, first 2 shown]
	s_wait_loadcnt 0x1
	v_mul_f64_e32 v[94:95], v[36:37], v[78:79]
	s_wait_loadcnt 0x0
	v_mul_f64_e32 v[96:97], v[34:35], v[82:83]
	v_mul_f64_e32 v[34:35], v[34:35], v[84:85]
	;; [unrolled: 1-line block ×3, first 2 shown]
	s_wait_dscnt 0x2
	v_fma_f64 v[60:61], v[40:41], v[60:61], -v[86:87]
	s_wait_dscnt 0x1
	v_fma_f64 v[66:67], v[46:47], v[66:67], -v[88:89]
	v_fma_f64 v[70:71], v[30:31], v[70:71], -v[90:91]
	s_wait_dscnt 0x0
	v_fma_f64 v[74:75], v[58:59], v[74:75], -v[92:93]
	v_fma_f64 v[32:33], v[40:41], v[62:63], v[32:33]
	v_fma_f64 v[38:39], v[46:47], v[68:69], v[38:39]
	;; [unrolled: 1-line block ×6, first 2 shown]
	v_fma_f64 v[34:35], v[42:43], v[82:83], -v[34:35]
	v_fma_f64 v[36:37], v[44:45], v[78:79], -v[36:37]
	v_mul_lo_u32 v89, s2, v55
	v_and_b32_e32 v90, 0xff, v64
	v_mul_lo_u32 v88, s3, v54
	s_delay_alu instid0(VALU_DEP_2)
	v_mad_co_u64_u32 v[86:87], null, s16, v90, 0
	v_or_b32_e32 v92, 0x100, v90
	v_add_f64_e32 v[42:43], v[60:61], v[66:67]
	v_add_f64_e32 v[44:45], v[70:71], v[74:75]
	;; [unrolled: 1-line block ×3, first 2 shown]
	v_add_f64_e64 v[32:33], v[32:33], -v[38:39]
	v_add_f64_e32 v[58:59], v[26:27], v[30:31]
	v_add_f64_e64 v[62:63], v[40:41], -v[46:47]
	v_add_f64_e32 v[40:41], v[40:41], v[46:47]
	v_add_f64_e32 v[38:39], v[36:37], v[34:35]
	v_add_f64_e64 v[46:47], v[26:27], -v[30:31]
	v_add_f64_e64 v[34:35], v[36:37], -v[34:35]
	;; [unrolled: 1-line block ×4, first 2 shown]
	v_add_f64_e32 v[26:27], v[42:43], v[44:45]
	v_add_f64_e32 v[30:31], v[56:57], v[58:59]
	v_add_f64_e64 v[66:67], v[62:63], -v[32:33]
	v_add_f64_e64 v[70:71], v[58:59], -v[40:41]
	;; [unrolled: 1-line block ×6, first 2 shown]
	v_add_f64_e32 v[36:37], v[34:35], v[36:37]
	v_add_f64_e32 v[78:79], v[38:39], v[26:27]
	v_add_f64_e64 v[38:39], v[38:39], -v[42:43]
	v_add_f64_e64 v[42:43], v[42:43], -v[44:45]
	v_add_f64_e32 v[80:81], v[40:41], v[30:31]
	v_add_f64_e64 v[40:41], v[40:41], -v[56:57]
	v_add_f64_e32 v[31:32], v[62:63], v[32:33]
	v_add_f64_e64 v[62:63], v[46:47], -v[62:63]
	s_wait_alu 0xfffe
	v_mul_f64_e32 v[66:67], s[18:19], v[66:67]
	v_mul_f64_e32 v[68:69], s[26:27], v[68:69]
	;; [unrolled: 1-line block ×3, first 2 shown]
	v_add_f64_e64 v[33:34], v[60:61], -v[34:35]
	v_mul_f64_e32 v[72:73], s[18:19], v[72:73]
	v_mul_f64_e32 v[82:83], s[6:7], v[74:75]
	;; [unrolled: 1-line block ×3, first 2 shown]
	v_add_f64_e64 v[55:56], v[56:57], -v[58:59]
	v_add_f64_e32 v[35:36], v[36:37], v[60:61]
	v_mad_co_u64_u32 v[57:58], null, s2, v54, 0
	s_mov_b32 s2, 0x37c3f68c
	s_mov_b32 s3, 0xbfdc38aa
	s_delay_alu instid0(VALU_DEP_1)
	v_add3_u32 v58, v58, v89, v88
	v_add_f64_e32 v[29:30], v[28:29], v[78:79]
	v_mul_f64_e32 v[44:45], s[14:15], v[38:39]
	v_add_f64_e32 v[27:28], v[24:25], v[80:81]
	v_mul_f64_e32 v[25:26], s[14:15], v[40:41]
	v_add_f64_e32 v[31:32], v[31:32], v[46:47]
	v_fma_f64 v[46:47], v[62:63], s[22:23], v[66:67]
	v_fma_f64 v[37:38], v[38:39], s[14:15], v[68:69]
	;; [unrolled: 1-line block ×3, first 2 shown]
	v_fma_f64 v[66:67], v[74:75], s[6:7], -v[66:67]
	v_fma_f64 v[68:69], v[42:43], s[12:13], -v[68:69]
	v_fma_f64 v[59:60], v[33:34], s[22:23], v[72:73]
	v_fma_f64 v[61:62], v[62:63], s[20:21], -v[82:83]
	v_fma_f64 v[33:34], v[33:34], s[20:21], -v[84:85]
	;; [unrolled: 1-line block ×3, first 2 shown]
	v_fma_f64 v[74:75], v[78:79], s[8:9], v[29:30]
	v_fma_f64 v[41:42], v[42:43], s[24:25], -v[44:45]
	v_fma_f64 v[43:44], v[76:77], s[6:7], -v[72:73]
	v_mov_b32_e32 v45, v87
	v_fma_f64 v[72:73], v[80:81], s[8:9], v[27:28]
	v_fma_f64 v[25:26], v[55:56], s[24:25], -v[25:26]
	v_mad_co_u64_u32 v[54:55], null, s16, v92, 0
	s_delay_alu instid0(VALU_DEP_4) | instskip(SKIP_3) | instid1(VALU_DEP_4)
	v_mad_co_u64_u32 v[87:88], null, s17, v90, v[45:46]
	s_wait_alu 0xfffe
	v_fma_f64 v[88:89], v[31:32], s[2:3], v[46:47]
	v_lshlrev_b64_e32 v[56:57], 4, v[57:58]
	v_mov_b32_e32 v45, v55
	v_or_b32_e32 v93, 0x200, v90
	v_or_b32_e32 v94, 0x300, v90
	;; [unrolled: 1-line block ×5, first 2 shown]
	v_fma_f64 v[90:91], v[35:36], s[2:3], v[59:60]
	v_fma_f64 v[59:60], v[31:32], s[2:3], v[61:62]
	;; [unrolled: 1-line block ×4, first 2 shown]
	v_mad_co_u64_u32 v[78:79], null, s16, v94, 0
	v_mad_co_u64_u32 v[76:77], null, s16, v93, 0
	;; [unrolled: 1-line block ×5, first 2 shown]
	v_mov_b32_e32 v58, v79
	v_dual_mov_b32 v55, v77 :: v_dual_add_nc_u32 v24, 0xe0, v64
	v_mov_b32_e32 v63, v81
	v_add_f64_e32 v[66:67], v[37:38], v[74:75]
	v_add_f64_e32 v[46:47], v[41:42], v[74:75]
	;; [unrolled: 1-line block ×3, first 2 shown]
	v_fma_f64 v[35:36], v[35:36], s[2:3], v[43:44]
	v_add_f64_e32 v[74:75], v[39:40], v[72:73]
	v_add_f64_e32 v[70:71], v[70:71], v[72:73]
	;; [unrolled: 1-line block ×3, first 2 shown]
	v_mov_b32_e32 v77, v83
	v_mov_b32_e32 v79, v85
	v_mad_co_u64_u32 v[37:38], null, s17, v93, v[55:56]
	v_add_co_u32 v25, s0, s10, v56
	s_wait_alu 0xf1ff
	v_add_co_ci_u32_e64 v26, s0, s11, v57, s0
	v_lshlrev_b64_e32 v[72:73], 4, v[86:87]
	s_delay_alu instid0(VALU_DEP_3) | instskip(SKIP_1) | instid1(VALU_DEP_3)
	v_add_co_u32 v25, s0, v25, v52
	s_wait_alu 0xf1ff
	v_add_co_ci_u32_e64 v26, s0, v26, v53, s0
	v_cmp_gt_u32_e32 vcc_lo, 0x100, v24
	v_mad_co_u64_u32 v[41:42], null, s17, v94, v[58:59]
	v_mad_co_u64_u32 v[42:43], null, s17, v95, v[63:64]
	;; [unrolled: 1-line block ×3, first 2 shown]
	v_mov_b32_e32 v77, v37
	s_delay_alu instid0(VALU_DEP_3) | instskip(NEXT) | instid1(VALU_DEP_2)
	v_mov_b32_e32 v81, v42
	v_lshlrev_b64_e32 v[76:77], 4, v[76:77]
	s_delay_alu instid0(VALU_DEP_4)
	v_mov_b32_e32 v83, v43
	v_mad_co_u64_u32 v[33:34], null, s17, v92, v[45:46]
	v_mad_co_u64_u32 v[44:45], null, s17, v97, v[79:80]
	v_add_f64_e32 v[37:38], v[59:60], v[68:69]
	v_add_f64_e32 v[56:57], v[90:91], v[74:75]
	;; [unrolled: 1-line block ×3, first 2 shown]
	v_mov_b32_e32 v79, v41
	v_mov_b32_e32 v55, v33
	v_add_f64_e64 v[41:42], v[46:47], -v[31:32]
	v_mov_b32_e32 v85, v44
	v_add_f64_e32 v[45:46], v[31:32], v[46:47]
	v_add_f64_e64 v[43:44], v[39:40], -v[35:36]
	v_lshlrev_b64_e32 v[86:87], 4, v[54:55]
	v_add_f64_e64 v[54:55], v[68:69], -v[59:60]
	v_add_f64_e64 v[58:59], v[66:67], -v[88:89]
	v_add_f64_e32 v[39:40], v[35:36], v[39:40]
	v_add_f64_e64 v[35:36], v[70:71], -v[61:62]
	v_add_f64_e32 v[33:34], v[88:89], v[66:67]
	v_add_f64_e64 v[31:32], v[74:75], -v[90:91]
	v_add_co_u32 v68, s0, v25, v72
	s_wait_alu 0xf1ff
	v_add_co_ci_u32_e64 v69, s0, v26, v73, s0
	v_lshlrev_b64_e32 v[78:79], 4, v[78:79]
	v_add_co_u32 v70, s0, v25, v86
	s_wait_alu 0xf1ff
	v_add_co_ci_u32_e64 v71, s0, v26, v87, s0
	v_lshlrev_b64_e32 v[60:61], 4, v[80:81]
	;; [unrolled: 4-line block ×4, first 2 shown]
	v_add_co_u32 v60, s0, v25, v60
	s_wait_alu 0xf1ff
	v_add_co_ci_u32_e64 v61, s0, v26, v61, s0
	v_add_co_u32 v62, s0, v25, v62
	s_wait_alu 0xf1ff
	v_add_co_ci_u32_e64 v63, s0, v26, v63, s0
	;; [unrolled: 3-line block ×3, first 2 shown]
	s_clause 0x6
	global_store_b128 v[68:69], v[27:30], off
	global_store_b128 v[70:71], v[56:59], off
	;; [unrolled: 1-line block ×7, first 2 shown]
	s_and_b32 exec_lo, exec_lo, vcc_lo
	s_cbranch_execz .LBB0_20
; %bb.19:
	v_and_b32_e32 v27, 0xff, v65
	s_delay_alu instid0(VALU_DEP_1) | instskip(NEXT) | instid1(VALU_DEP_1)
	v_mul_u32_u24_e32 v27, 6, v27
	v_lshlrev_b32_e32 v47, 4, v27
	s_clause 0x5
	global_load_b128 v[27:30], v47, s[4:5] offset:4032
	global_load_b128 v[31:34], v47, s[4:5] offset:4048
	;; [unrolled: 1-line block ×6, first 2 shown]
	s_wait_loadcnt 0x5
	v_mul_f64_e32 v[56:57], v[20:21], v[29:30]
	v_mul_f64_e32 v[29:30], v[8:9], v[29:30]
	s_wait_loadcnt 0x4
	v_mul_f64_e32 v[58:59], v[22:23], v[33:34]
	v_mul_f64_e32 v[33:34], v[10:11], v[33:34]
	;; [unrolled: 3-line block ×6, first 2 shown]
	v_fma_f64 v[8:9], v[8:9], v[27:28], v[56:57]
	v_fma_f64 v[20:21], v[20:21], v[27:28], -v[29:30]
	v_fma_f64 v[10:11], v[10:11], v[31:32], v[58:59]
	v_fma_f64 v[22:23], v[22:23], v[31:32], -v[33:34]
	;; [unrolled: 2-line block ×6, first 2 shown]
	v_add_nc_u32_e32 v61, 0x1e0, v64
	v_add_nc_u32_e32 v62, 0x2e0, v64
	;; [unrolled: 1-line block ×6, first 2 shown]
	v_add_f64_e32 v[27:28], v[8:9], v[6:7]
	v_add_f64_e32 v[29:30], v[20:21], v[18:19]
	;; [unrolled: 1-line block ×4, first 2 shown]
	v_add_f64_e64 v[4:5], v[10:11], -v[4:5]
	v_add_f64_e64 v[10:11], v[22:23], -v[16:17]
	v_add_f64_e32 v[16:17], v[0:1], v[2:3]
	v_add_f64_e32 v[22:23], v[12:13], v[14:15]
	v_add_f64_e64 v[0:1], v[2:3], -v[0:1]
	v_add_f64_e64 v[2:3], v[14:15], -v[12:13]
	;; [unrolled: 1-line block ×4, first 2 shown]
	v_add_f64_e32 v[12:13], v[31:32], v[27:28]
	v_add_f64_e32 v[14:15], v[33:34], v[29:30]
	v_add_f64_e64 v[18:19], v[27:28], -v[16:17]
	v_add_f64_e64 v[20:21], v[29:30], -v[22:23]
	;; [unrolled: 1-line block ×6, first 2 shown]
	v_add_f64_e32 v[4:5], v[0:1], v[4:5]
	v_add_f64_e32 v[10:11], v[2:3], v[10:11]
	v_add_f64_e64 v[43:44], v[6:7], -v[0:1]
	v_add_f64_e64 v[45:46], v[8:9], -v[2:3]
	;; [unrolled: 1-line block ×4, first 2 shown]
	v_add_f64_e32 v[12:13], v[16:17], v[12:13]
	v_add_f64_e32 v[14:15], v[22:23], v[14:15]
	v_add_f64_e64 v[16:17], v[16:17], -v[31:32]
	v_add_f64_e64 v[22:23], v[22:23], -v[33:34]
	v_mul_f64_e32 v[18:19], s[26:27], v[18:19]
	v_mul_f64_e32 v[20:21], s[26:27], v[20:21]
	;; [unrolled: 1-line block ×6, first 2 shown]
	v_add_f64_e32 v[4:5], v[4:5], v[6:7]
	v_add_f64_e32 v[6:7], v[10:11], v[8:9]
	;; [unrolled: 1-line block ×4, first 2 shown]
	v_mul_f64_e32 v[31:32], s[14:15], v[16:17]
	v_mul_f64_e32 v[33:34], s[14:15], v[22:23]
	v_fma_f64 v[8:9], v[16:17], s[14:15], v[18:19]
	v_fma_f64 v[10:11], v[22:23], s[14:15], v[20:21]
	;; [unrolled: 1-line block ×4, first 2 shown]
	v_fma_f64 v[37:38], v[41:42], s[6:7], -v[37:38]
	v_fma_f64 v[41:42], v[45:46], s[20:21], -v[54:55]
	;; [unrolled: 1-line block ×6, first 2 shown]
	v_mad_co_u64_u32 v[51:52], null, s16, v64, 0
	v_fma_f64 v[12:13], v[12:13], s[8:9], v[0:1]
	v_fma_f64 v[14:15], v[14:15], s[8:9], v[2:3]
	v_fma_f64 v[27:28], v[27:28], s[24:25], -v[31:32]
	v_fma_f64 v[29:30], v[29:30], s[24:25], -v[33:34]
	v_mad_co_u64_u32 v[31:32], null, s16, v24, 0
	v_fma_f64 v[53:54], v[4:5], s[2:3], v[16:17]
	v_fma_f64 v[55:56], v[6:7], s[2:3], v[22:23]
	;; [unrolled: 1-line block ×6, first 2 shown]
	v_add_f64_e32 v[39:40], v[8:9], v[12:13]
	v_add_f64_e32 v[41:42], v[10:11], v[14:15]
	v_mov_b32_e32 v10, v52
	v_mad_co_u64_u32 v[33:34], null, s16, v61, 0
	v_add_f64_e32 v[57:58], v[18:19], v[12:13]
	v_add_f64_e32 v[59:60], v[20:21], v[14:15]
	;; [unrolled: 1-line block ×4, first 2 shown]
	v_mad_co_u64_u32 v[4:5], null, s17, v24, v[32:33]
	v_mov_b32_e32 v5, v34
	v_mad_co_u64_u32 v[43:44], null, s16, v62, 0
	s_delay_alu instid0(VALU_DEP_3) | instskip(SKIP_1) | instid1(VALU_DEP_3)
	v_mov_b32_e32 v32, v4
	v_mad_co_u64_u32 v[45:46], null, s16, v63, 0
	v_mov_b32_e32 v6, v44
	s_delay_alu instid0(VALU_DEP_3) | instskip(NEXT) | instid1(VALU_DEP_2)
	v_lshlrev_b64_e32 v[31:32], 4, v[31:32]
	v_mad_co_u64_u32 v[11:12], null, s17, v61, v[5:6]
	s_delay_alu instid0(VALU_DEP_4) | instskip(SKIP_1) | instid1(VALU_DEP_4)
	v_mov_b32_e32 v7, v46
	v_mad_co_u64_u32 v[49:50], null, s16, v66, 0
	v_add_co_u32 v31, vcc_lo, v25, v31
	s_delay_alu instid0(VALU_DEP_3)
	v_mad_co_u64_u32 v[5:6], null, s17, v62, v[6:7]
	v_mov_b32_e32 v34, v11
	v_mad_co_u64_u32 v[47:48], null, s16, v65, 0
	v_mov_b32_e32 v9, v50
	v_add_f64_e64 v[27:28], v[39:40], -v[55:56]
	v_add_f64_e32 v[29:30], v[53:54], v[41:42]
	v_mov_b32_e32 v44, v5
	v_add_f64_e32 v[4:5], v[55:56], v[39:40]
	v_lshlrev_b64_e32 v[33:34], 4, v[33:34]
	v_mov_b32_e32 v8, v48
	v_add_f64_e64 v[12:13], v[18:19], -v[16:17]
	v_add_f64_e32 v[14:15], v[22:23], v[20:21]
	v_add_f64_e32 v[16:17], v[16:17], v[18:19]
	v_add_f64_e64 v[18:19], v[20:21], -v[22:23]
	v_mad_co_u64_u32 v[6:7], null, s17, v63, v[7:8]
	v_mad_co_u64_u32 v[7:8], null, s17, v65, v[8:9]
	;; [unrolled: 1-line block ×4, first 2 shown]
	s_delay_alu instid0(VALU_DEP_4)
	v_mov_b32_e32 v46, v6
	v_add_f64_e64 v[10:11], v[59:60], -v[35:36]
	v_mov_b32_e32 v48, v7
	v_add_f64_e64 v[6:7], v[41:42], -v[53:54]
	;; [unrolled: 2-line block ×3, first 2 shown]
	v_mov_b32_e32 v52, v9
	v_add_f64_e32 v[8:9], v[37:38], v[57:58]
	v_add_f64_e32 v[22:23], v[35:36], v[59:60]
	v_lshlrev_b64_e32 v[43:44], 4, v[43:44]
	s_wait_alu 0xfffd
	v_add_co_ci_u32_e32 v32, vcc_lo, v26, v32, vcc_lo
	v_lshlrev_b64_e32 v[45:46], 4, v[45:46]
	v_add_co_u32 v33, vcc_lo, v25, v33
	s_wait_alu 0xfffd
	v_add_co_ci_u32_e32 v34, vcc_lo, v26, v34, vcc_lo
	v_lshlrev_b64_e32 v[35:36], 4, v[47:48]
	v_add_co_u32 v41, vcc_lo, v25, v43
	;; [unrolled: 4-line block ×4, first 2 shown]
	s_wait_alu 0xfffd
	v_add_co_ci_u32_e32 v36, vcc_lo, v26, v36, vcc_lo
	v_add_co_u32 v37, vcc_lo, v25, v37
	s_wait_alu 0xfffd
	v_add_co_ci_u32_e32 v38, vcc_lo, v26, v38, vcc_lo
	v_add_co_u32 v24, vcc_lo, v25, v39
	s_wait_alu 0xfffd
	v_add_co_ci_u32_e32 v25, vcc_lo, v26, v40, vcc_lo
	s_clause 0x6
	global_store_b128 v[31:32], v[0:3], off
	global_store_b128 v[33:34], v[4:7], off
	;; [unrolled: 1-line block ×7, first 2 shown]
.LBB0_20:
	s_nop 0
	s_sendmsg sendmsg(MSG_DEALLOC_VGPRS)
	s_endpgm
	.section	.rodata,"a",@progbits
	.p2align	6, 0x0
	.amdhsa_kernel fft_rtc_back_len1792_factors_4_4_4_4_7_wgs_224_tpt_224_halfLds_dp_op_CI_CI_sbrr_dirReg
		.amdhsa_group_segment_fixed_size 0
		.amdhsa_private_segment_fixed_size 0
		.amdhsa_kernarg_size 104
		.amdhsa_user_sgpr_count 2
		.amdhsa_user_sgpr_dispatch_ptr 0
		.amdhsa_user_sgpr_queue_ptr 0
		.amdhsa_user_sgpr_kernarg_segment_ptr 1
		.amdhsa_user_sgpr_dispatch_id 0
		.amdhsa_user_sgpr_private_segment_size 0
		.amdhsa_wavefront_size32 1
		.amdhsa_uses_dynamic_stack 0
		.amdhsa_enable_private_segment 0
		.amdhsa_system_sgpr_workgroup_id_x 1
		.amdhsa_system_sgpr_workgroup_id_y 0
		.amdhsa_system_sgpr_workgroup_id_z 0
		.amdhsa_system_sgpr_workgroup_info 0
		.amdhsa_system_vgpr_workitem_id 0
		.amdhsa_next_free_vgpr 98
		.amdhsa_next_free_sgpr 43
		.amdhsa_reserve_vcc 1
		.amdhsa_float_round_mode_32 0
		.amdhsa_float_round_mode_16_64 0
		.amdhsa_float_denorm_mode_32 3
		.amdhsa_float_denorm_mode_16_64 3
		.amdhsa_fp16_overflow 0
		.amdhsa_workgroup_processor_mode 1
		.amdhsa_memory_ordered 1
		.amdhsa_forward_progress 0
		.amdhsa_round_robin_scheduling 0
		.amdhsa_exception_fp_ieee_invalid_op 0
		.amdhsa_exception_fp_denorm_src 0
		.amdhsa_exception_fp_ieee_div_zero 0
		.amdhsa_exception_fp_ieee_overflow 0
		.amdhsa_exception_fp_ieee_underflow 0
		.amdhsa_exception_fp_ieee_inexact 0
		.amdhsa_exception_int_div_zero 0
	.end_amdhsa_kernel
	.text
.Lfunc_end0:
	.size	fft_rtc_back_len1792_factors_4_4_4_4_7_wgs_224_tpt_224_halfLds_dp_op_CI_CI_sbrr_dirReg, .Lfunc_end0-fft_rtc_back_len1792_factors_4_4_4_4_7_wgs_224_tpt_224_halfLds_dp_op_CI_CI_sbrr_dirReg
                                        ; -- End function
	.section	.AMDGPU.csdata,"",@progbits
; Kernel info:
; codeLenInByte = 8000
; NumSgprs: 45
; NumVgprs: 98
; ScratchSize: 0
; MemoryBound: 1
; FloatMode: 240
; IeeeMode: 1
; LDSByteSize: 0 bytes/workgroup (compile time only)
; SGPRBlocks: 5
; VGPRBlocks: 12
; NumSGPRsForWavesPerEU: 45
; NumVGPRsForWavesPerEU: 98
; Occupancy: 12
; WaveLimiterHint : 1
; COMPUTE_PGM_RSRC2:SCRATCH_EN: 0
; COMPUTE_PGM_RSRC2:USER_SGPR: 2
; COMPUTE_PGM_RSRC2:TRAP_HANDLER: 0
; COMPUTE_PGM_RSRC2:TGID_X_EN: 1
; COMPUTE_PGM_RSRC2:TGID_Y_EN: 0
; COMPUTE_PGM_RSRC2:TGID_Z_EN: 0
; COMPUTE_PGM_RSRC2:TIDIG_COMP_CNT: 0
	.text
	.p2alignl 7, 3214868480
	.fill 96, 4, 3214868480
	.type	__hip_cuid_a7be9e3b5e4c370d,@object ; @__hip_cuid_a7be9e3b5e4c370d
	.section	.bss,"aw",@nobits
	.globl	__hip_cuid_a7be9e3b5e4c370d
__hip_cuid_a7be9e3b5e4c370d:
	.byte	0                               ; 0x0
	.size	__hip_cuid_a7be9e3b5e4c370d, 1

	.ident	"AMD clang version 19.0.0git (https://github.com/RadeonOpenCompute/llvm-project roc-6.4.0 25133 c7fe45cf4b819c5991fe208aaa96edf142730f1d)"
	.section	".note.GNU-stack","",@progbits
	.addrsig
	.addrsig_sym __hip_cuid_a7be9e3b5e4c370d
	.amdgpu_metadata
---
amdhsa.kernels:
  - .args:
      - .actual_access:  read_only
        .address_space:  global
        .offset:         0
        .size:           8
        .value_kind:     global_buffer
      - .offset:         8
        .size:           8
        .value_kind:     by_value
      - .actual_access:  read_only
        .address_space:  global
        .offset:         16
        .size:           8
        .value_kind:     global_buffer
      - .actual_access:  read_only
        .address_space:  global
        .offset:         24
        .size:           8
        .value_kind:     global_buffer
      - .actual_access:  read_only
        .address_space:  global
        .offset:         32
        .size:           8
        .value_kind:     global_buffer
      - .offset:         40
        .size:           8
        .value_kind:     by_value
      - .actual_access:  read_only
        .address_space:  global
        .offset:         48
        .size:           8
        .value_kind:     global_buffer
      - .actual_access:  read_only
        .address_space:  global
        .offset:         56
        .size:           8
        .value_kind:     global_buffer
      - .offset:         64
        .size:           4
        .value_kind:     by_value
      - .actual_access:  read_only
        .address_space:  global
        .offset:         72
        .size:           8
        .value_kind:     global_buffer
      - .actual_access:  read_only
        .address_space:  global
        .offset:         80
        .size:           8
        .value_kind:     global_buffer
      - .actual_access:  read_only
        .address_space:  global
        .offset:         88
        .size:           8
        .value_kind:     global_buffer
      - .actual_access:  write_only
        .address_space:  global
        .offset:         96
        .size:           8
        .value_kind:     global_buffer
    .group_segment_fixed_size: 0
    .kernarg_segment_align: 8
    .kernarg_segment_size: 104
    .language:       OpenCL C
    .language_version:
      - 2
      - 0
    .max_flat_workgroup_size: 224
    .name:           fft_rtc_back_len1792_factors_4_4_4_4_7_wgs_224_tpt_224_halfLds_dp_op_CI_CI_sbrr_dirReg
    .private_segment_fixed_size: 0
    .sgpr_count:     45
    .sgpr_spill_count: 0
    .symbol:         fft_rtc_back_len1792_factors_4_4_4_4_7_wgs_224_tpt_224_halfLds_dp_op_CI_CI_sbrr_dirReg.kd
    .uniform_work_group_size: 1
    .uses_dynamic_stack: false
    .vgpr_count:     98
    .vgpr_spill_count: 0
    .wavefront_size: 32
    .workgroup_processor_mode: 1
amdhsa.target:   amdgcn-amd-amdhsa--gfx1201
amdhsa.version:
  - 1
  - 2
...

	.end_amdgpu_metadata
